;; amdgpu-corpus repo=ROCm/rocFFT kind=compiled arch=gfx1030 opt=O3
	.text
	.amdgcn_target "amdgcn-amd-amdhsa--gfx1030"
	.amdhsa_code_object_version 6
	.protected	fft_rtc_fwd_len40_factors_5_4_2_wgs_200_tpt_10_halfLds_dim1_sp_op_CI_CI_unitstride_sbrr_R2C_dirReg ; -- Begin function fft_rtc_fwd_len40_factors_5_4_2_wgs_200_tpt_10_halfLds_dim1_sp_op_CI_CI_unitstride_sbrr_R2C_dirReg
	.globl	fft_rtc_fwd_len40_factors_5_4_2_wgs_200_tpt_10_halfLds_dim1_sp_op_CI_CI_unitstride_sbrr_R2C_dirReg
	.p2align	8
	.type	fft_rtc_fwd_len40_factors_5_4_2_wgs_200_tpt_10_halfLds_dim1_sp_op_CI_CI_unitstride_sbrr_R2C_dirReg,@function
fft_rtc_fwd_len40_factors_5_4_2_wgs_200_tpt_10_halfLds_dim1_sp_op_CI_CI_unitstride_sbrr_R2C_dirReg: ; @fft_rtc_fwd_len40_factors_5_4_2_wgs_200_tpt_10_halfLds_dim1_sp_op_CI_CI_unitstride_sbrr_R2C_dirReg
; %bb.0:
	v_mul_u32_u24_e32 v1, 0x199a, v0
	s_load_dwordx2 s[0:1], s[4:5], 0x20
                                        ; implicit-def: $vgpr15
                                        ; implicit-def: $vgpr8
	v_lshrrev_b32_e32 v1, 16, v1
	v_mad_u64_u32 v[10:11], null, s6, 20, v[1:2]
	v_mov_b32_e32 v11, 0
	v_mul_hi_u32 v2, 0xcccccccd, v10
	s_waitcnt lgkmcnt(0)
	v_cmp_gt_u64_e32 vcc_lo, s[0:1], v[10:11]
	v_cmp_le_u64_e64 s0, s[0:1], v[10:11]
	v_lshrrev_b32_e32 v2, 4, v2
	v_mul_lo_u32 v2, v2, 20
	v_sub_nc_u32_e32 v2, v10, v2
	s_and_saveexec_b32 s1, s0
	s_xor_b32 s0, exec_lo, s1
; %bb.1:
	v_mov_b32_e32 v1, 0x199a
	v_mul_u32_u24_sdwa v1, v0, v1 dst_sel:DWORD dst_unused:UNUSED_PAD src0_sel:WORD_0 src1_sel:DWORD
	v_lshrrev_b32_e32 v1, 16, v1
	v_mul_lo_u16 v1, v1, 10
	v_sub_nc_u16 v15, v0, v1
                                        ; implicit-def: $vgpr1
                                        ; implicit-def: $vgpr0
	v_and_b32_e32 v8, 0xffff, v15
; %bb.2:
	s_or_saveexec_b32 s1, s0
	s_load_dwordx2 s[2:3], s[4:5], 0x0
	v_mul_u32_u24_e32 v2, 41, v2
	v_lshlrev_b32_e32 v17, 3, v2
	s_xor_b32 exec_lo, exec_lo, s1
	s_cbranch_execz .LBB0_4
; %bb.3:
	s_clause 0x1
	s_load_dwordx2 s[6:7], s[4:5], 0x10
	s_load_dwordx2 s[8:9], s[4:5], 0x50
	v_mul_lo_u16 v1, v1, 10
	v_sub_nc_u16 v15, v0, v1
	v_and_b32_e32 v8, 0xffff, v15
	v_lshlrev_b32_e32 v9, 3, v8
	s_waitcnt lgkmcnt(0)
	s_load_dwordx2 s[6:7], s[6:7], 0x8
	s_waitcnt lgkmcnt(0)
	v_mad_u64_u32 v[2:3], null, s6, v10, 0
	v_mad_u64_u32 v[3:4], null, s7, v10, v[3:4]
	v_lshlrev_b64 v[0:1], 3, v[2:3]
	v_add_co_u32 v0, s0, s8, v0
	v_add_co_ci_u32_e64 v1, s0, s9, v1, s0
	v_add_co_u32 v0, s0, v0, v9
	v_add_co_ci_u32_e64 v1, s0, 0, v1, s0
	v_add3_u32 v9, 0, v17, v9
	s_clause 0x3
	global_load_dwordx2 v[2:3], v[0:1], off
	global_load_dwordx2 v[4:5], v[0:1], off offset:80
	global_load_dwordx2 v[6:7], v[0:1], off offset:160
	;; [unrolled: 1-line block ×3, first 2 shown]
	s_waitcnt vmcnt(2)
	ds_write2_b64 v9, v[2:3], v[4:5] offset1:10
	s_waitcnt vmcnt(0)
	ds_write2_b64 v9, v[6:7], v[0:1] offset0:20 offset1:30
.LBB0_4:
	s_or_b32 exec_lo, exec_lo, s1
	v_lshlrev_b32_e32 v16, 3, v8
	v_add_nc_u32_e32 v13, 0, v17
	s_waitcnt lgkmcnt(0)
	s_barrier
	buffer_gl0_inv
	v_add_nc_u32_e32 v9, 0, v16
	v_add_nc_u32_e32 v14, v13, v16
	s_load_dwordx2 s[6:7], s[4:5], 0x18
	s_mov_b32 s1, exec_lo
	v_add_nc_u32_e32 v18, v9, v17
	ds_read_b64 v[11:12], v14
	ds_read2_b64 v[4:7], v18 offset0:8 offset1:16
	ds_read2_b64 v[0:3], v18 offset0:24 offset1:32
	s_waitcnt lgkmcnt(0)
	s_barrier
	buffer_gl0_inv
	v_cmpx_gt_u16_e32 8, v15
	s_cbranch_execz .LBB0_6
; %bb.5:
	v_add_f32_e32 v19, v5, v3
	v_sub_f32_e32 v21, v7, v5
	v_sub_f32_e32 v23, v1, v3
	v_add_f32_e32 v24, v7, v1
	v_sub_f32_e32 v28, v4, v2
	v_fma_f32 v20, -0.5, v19, v12
	v_sub_f32_e32 v25, v6, v4
	v_add_f32_e32 v19, v4, v2
	v_sub_f32_e32 v29, v5, v3
	v_add_f32_e32 v31, v21, v23
	v_sub_f32_e32 v23, v5, v7
	v_sub_f32_e32 v32, v3, v1
	v_fma_f32 v24, -0.5, v24, v12
	v_add_f32_e32 v33, v6, v0
	v_add_f32_e32 v5, v12, v5
	v_sub_f32_e32 v12, v4, v6
	v_add_f32_e32 v4, v11, v4
	v_sub_f32_e32 v26, v0, v2
	v_add_f32_e32 v32, v23, v32
	v_fma_f32 v23, -0.5, v33, v11
	v_sub_f32_e32 v27, v6, v0
	v_add_f32_e32 v4, v4, v6
	v_sub_f32_e32 v30, v7, v1
	v_fma_f32 v19, -0.5, v19, v11
	v_add_f32_e32 v34, v25, v26
	v_fmamk_f32 v26, v28, 0xbf737871, v24
	v_sub_f32_e32 v33, v2, v0
	v_fmamk_f32 v25, v29, 0x3f737871, v23
	v_add_f32_e32 v5, v5, v7
	v_add_f32_e32 v0, v4, v0
	v_fmamk_f32 v22, v27, 0x3f737871, v20
	v_fmamk_f32 v21, v30, 0xbf737871, v19
	v_fmac_f32_e32 v20, 0xbf737871, v27
	v_fmac_f32_e32 v19, 0x3f737871, v30
	;; [unrolled: 1-line block ×5, first 2 shown]
	v_add_f32_e32 v7, v12, v33
	v_fmac_f32_e32 v25, 0x3f167918, v30
	v_add_f32_e32 v1, v5, v1
	v_add_f32_e32 v0, v0, v2
	v_lshlrev_b32_e32 v2, 5, v8
	v_fmac_f32_e32 v22, 0xbf167918, v28
	v_fmac_f32_e32 v21, 0x3f167918, v29
	;; [unrolled: 1-line block ×8, first 2 shown]
	v_add_f32_e32 v1, v1, v3
	v_add3_u32 v2, v9, v2, v17
	v_fmac_f32_e32 v22, 0x3e9e377a, v31
	v_fmac_f32_e32 v21, 0x3e9e377a, v34
	;; [unrolled: 1-line block ×6, first 2 shown]
	ds_write2_b64 v2, v[0:1], v[25:26] offset1:1
	ds_write2_b64 v2, v[21:22], v[19:20] offset0:2 offset1:3
	ds_write_b64 v2, v[23:24] offset:32
.LBB0_6:
	s_or_b32 exec_lo, exec_lo, s1
	v_add_nc_u32_e32 v0, -5, v8
	v_cmp_gt_u16_e64 s0, 5, v15
	v_mov_b32_e32 v4, 0
	s_load_dwordx2 s[6:7], s[6:7], 0x8
	s_waitcnt lgkmcnt(0)
	s_barrier
	v_cndmask_b32_e64 v25, v0, v8, s0
	buffer_gl0_inv
	v_mov_b32_e32 v9, 3
	v_mul_i32_i24_e32 v3, 3, v25
	v_lshlrev_b64 v[0:1], 3, v[3:4]
	v_add_co_u32 v5, s0, s2, v0
	v_add_co_ci_u32_e64 v6, s0, s3, v1, s0
	v_cmp_lt_u16_e64 s0, 4, v15
	s_clause 0x1
	global_load_dwordx4 v[0:3], v[5:6], off
	global_load_dwordx2 v[6:7], v[5:6], off offset:16
	ds_read2_b64 v[19:22], v18 offset0:10 offset1:20
	ds_read_b64 v[11:12], v18 offset:240
	ds_read_b64 v[23:24], v14
	v_cndmask_b32_e64 v5, 0, 0xa0, s0
	s_waitcnt vmcnt(0) lgkmcnt(0)
	s_barrier
	buffer_gl0_inv
	v_add_nc_u32_e32 v26, 0, v5
	v_lshlrev_b32_sdwa v5, v9, v15 dst_sel:DWORD dst_unused:UNUSED_PAD src0_sel:DWORD src1_sel:WORD_0
	v_mov_b32_e32 v9, v4
	v_mul_f32_e32 v4, v1, v20
	v_mul_f32_e32 v27, v1, v19
	;; [unrolled: 1-line block ×6, first 2 shown]
	v_fma_f32 v4, v0, v19, -v4
	v_fmac_f32_e32 v27, v0, v20
	v_fma_f32 v0, v2, v21, -v1
	v_fmac_f32_e32 v3, v2, v22
	;; [unrolled: 2-line block ×3, first 2 shown]
	v_lshlrev_b32_e32 v2, 3, v25
	v_sub_f32_e32 v19, v23, v0
	v_sub_f32_e32 v20, v24, v3
	;; [unrolled: 1-line block ×4, first 2 shown]
	v_lshlrev_b64 v[0:1], 3, v[8:9]
	v_fma_f32 v9, v23, 2.0, -v19
	v_fma_f32 v22, v24, 2.0, -v20
	;; [unrolled: 1-line block ×4, first 2 shown]
	v_add3_u32 v17, v26, v2, v17
	v_sub_f32_e32 v2, v19, v6
	v_add_f32_e32 v3, v20, v3
	v_sub_f32_e32 v6, v9, v4
	v_sub_f32_e32 v7, v22, v7
	v_add_co_u32 v11, s0, s2, v0
	v_add_co_ci_u32_e64 v12, s0, s3, v1, s0
	v_fma_f32 v19, v19, 2.0, -v2
	v_fma_f32 v20, v20, 2.0, -v3
	;; [unrolled: 1-line block ×4, first 2 shown]
	ds_write2_b64 v17, v[6:7], v[2:3] offset0:10 offset1:15
	ds_write2_b64 v17, v[21:22], v[19:20] offset1:5
	s_waitcnt lgkmcnt(0)
	s_barrier
	buffer_gl0_inv
	s_clause 0x1
	global_load_dwordx2 v[2:3], v5, s[2:3] offset:120
	global_load_dwordx2 v[6:7], v[11:12], off offset:200
	ds_read2_b64 v[19:22], v18 offset0:10 offset1:20
	ds_read_b64 v[11:12], v18 offset:240
	ds_read_b64 v[23:24], v14
	s_waitcnt vmcnt(0) lgkmcnt(0)
	s_barrier
	buffer_gl0_inv
	v_cmp_ne_u16_e64 s0, 0, v15
	v_mul_f32_e32 v4, v3, v22
	v_mul_f32_e32 v3, v3, v21
	v_mul_f32_e32 v9, v7, v12
	v_mul_f32_e32 v7, v7, v11
	v_fma_f32 v4, v2, v21, -v4
	v_fmac_f32_e32 v3, v2, v22
	v_fma_f32 v9, v6, v11, -v9
	v_fmac_f32_e32 v7, v6, v12
	v_sub_f32_e32 v2, v23, v4
	v_sub_f32_e32 v3, v24, v3
	;; [unrolled: 1-line block ×4, first 2 shown]
	v_sub_nc_u32_e32 v4, v13, v16
	v_fma_f32 v11, v23, 2.0, -v2
	v_fma_f32 v12, v24, 2.0, -v3
	;; [unrolled: 1-line block ×4, first 2 shown]
	ds_write2_b64 v18, v[2:3], v[6:7] offset0:20 offset1:30
	ds_write2_b64 v18, v[11:12], v[19:20] offset1:10
	s_waitcnt lgkmcnt(0)
	s_barrier
	buffer_gl0_inv
	ds_read_b64 v[2:3], v14
                                        ; implicit-def: $vgpr7
                                        ; implicit-def: $vgpr6
	s_and_saveexec_b32 s1, s0
	s_xor_b32 s0, exec_lo, s1
	s_cbranch_execz .LBB0_8
; %bb.7:
	v_add_co_u32 v5, s1, s2, v5
	v_add_co_ci_u32_e64 v6, null, s3, 0, s1
	ds_read_b64 v[11:12], v4 offset:320
	global_load_dwordx2 v[5:6], v[5:6], off offset:280
	s_waitcnt lgkmcnt(0)
	v_sub_f32_e32 v7, v2, v11
	v_add_f32_e32 v9, v12, v3
	v_sub_f32_e32 v3, v3, v12
	v_add_f32_e32 v2, v11, v2
	v_mul_f32_e32 v7, 0.5, v7
	v_mul_f32_e32 v9, 0.5, v9
	;; [unrolled: 1-line block ×3, first 2 shown]
	s_waitcnt vmcnt(0)
	v_mul_f32_e32 v11, v6, v7
	v_fma_f32 v12, v9, v6, v3
	v_fma_f32 v3, v9, v6, -v3
	v_fma_f32 v6, 0.5, v2, v11
	v_fma_f32 v2, v2, 0.5, -v11
	v_fma_f32 v11, -v5, v7, v12
	v_fma_f32 v3, -v5, v7, v3
	ds_write_b32 v14, v11 offset:4
	ds_write_b32 v4, v3 offset:324
	v_fmac_f32_e32 v6, v5, v9
	v_fma_f32 v7, -v5, v9, v2
                                        ; implicit-def: $vgpr2_vgpr3
.LBB0_8:
	s_andn2_saveexec_b32 s0, s0
	s_cbranch_execz .LBB0_10
; %bb.9:
	v_mov_b32_e32 v5, 0
	s_waitcnt lgkmcnt(0)
	v_add_f32_e32 v6, v2, v3
	v_sub_f32_e32 v7, v2, v3
	ds_write_b32 v14, v5 offset:4
	ds_write_b32 v4, v5 offset:324
	ds_read_b32 v5, v13 offset:164
	s_waitcnt lgkmcnt(0)
	v_xor_b32_e32 v5, 0x80000000, v5
	ds_write_b32 v13, v5 offset:164
.LBB0_10:
	s_or_b32 exec_lo, exec_lo, s0
	s_add_u32 s0, s2, 0x118
	s_addc_u32 s1, s3, 0
	v_add_co_u32 v0, s0, s0, v0
	v_add_co_ci_u32_e64 v1, s0, s1, v1, s0
	global_load_dwordx2 v[0:1], v[0:1], off offset:80
	ds_write_b32 v14, v6
	ds_write_b32 v4, v7 offset:320
	s_waitcnt lgkmcnt(2)
	ds_read_b64 v[2:3], v14 offset:80
	ds_read_b64 v[5:6], v4 offset:240
	s_waitcnt lgkmcnt(0)
	v_sub_f32_e32 v7, v2, v5
	v_add_f32_e32 v9, v3, v6
	v_sub_f32_e32 v3, v3, v6
	v_add_f32_e32 v2, v2, v5
	v_mul_f32_e32 v6, 0.5, v7
	v_mul_f32_e32 v7, 0.5, v9
	v_mul_f32_e32 v3, 0.5, v3
	s_waitcnt vmcnt(0)
	v_mul_f32_e32 v5, v1, v6
	v_fma_f32 v9, v7, v1, v3
	v_fma_f32 v1, v7, v1, -v3
	v_fma_f32 v3, 0.5, v2, v5
	v_fma_f32 v2, v2, 0.5, -v5
	v_fma_f32 v5, -v0, v6, v9
	v_fma_f32 v1, -v0, v6, v1
	v_fmac_f32_e32 v3, v0, v7
	v_fma_f32 v0, -v0, v7, v2
	ds_write2_b32 v14, v3, v5 offset0:20 offset1:21
	ds_write_b64 v4, v[0:1] offset:240
	s_waitcnt lgkmcnt(0)
	s_barrier
	buffer_gl0_inv
	s_and_saveexec_b32 s0, vcc_lo
	s_cbranch_execz .LBB0_13
; %bb.11:
	v_mad_u64_u32 v[0:1], null, s6, v10, 0
	s_load_dwordx2 s[0:1], s[4:5], 0x58
	v_mov_b32_e32 v9, 0
	v_add_nc_u32_e32 v14, 10, v8
	v_add_nc_u32_e32 v16, 20, v8
	;; [unrolled: 1-line block ×3, first 2 shown]
	v_mov_b32_e32 v15, v9
	v_mad_u64_u32 v[1:2], null, s7, v10, v[1:2]
	v_lshl_add_u32 v2, v8, 3, v13
	v_lshlrev_b64 v[20:21], 3, v[8:9]
	v_mov_b32_e32 v17, v9
	v_lshlrev_b64 v[14:15], 3, v[14:15]
	v_mov_b32_e32 v19, v9
	ds_read2_b64 v[3:6], v2 offset1:10
	v_lshlrev_b64 v[0:1], 3, v[0:1]
	ds_read2_b64 v[10:13], v2 offset0:20 offset1:30
	v_lshlrev_b64 v[16:17], 3, v[16:17]
	v_lshlrev_b64 v[18:19], 3, v[18:19]
	s_waitcnt lgkmcnt(0)
	v_add_co_u32 v0, vcc_lo, s0, v0
	v_add_co_ci_u32_e32 v1, vcc_lo, s1, v1, vcc_lo
	v_add_co_u32 v20, vcc_lo, v0, v20
	v_add_co_ci_u32_e32 v21, vcc_lo, v1, v21, vcc_lo
	;; [unrolled: 2-line block ×5, first 2 shown]
	v_cmp_eq_u32_e32 vcc_lo, 9, v8
	global_store_dwordx2 v[20:21], v[3:4], off
	global_store_dwordx2 v[14:15], v[5:6], off
	global_store_dwordx2 v[16:17], v[10:11], off
	global_store_dwordx2 v[18:19], v[12:13], off
	s_and_b32 exec_lo, exec_lo, vcc_lo
	s_cbranch_execz .LBB0_13
; %bb.12:
	ds_read_b64 v[2:3], v2 offset:248
	s_waitcnt lgkmcnt(0)
	global_store_dwordx2 v[0:1], v[2:3], off offset:320
.LBB0_13:
	s_endpgm
	.section	.rodata,"a",@progbits
	.p2align	6, 0x0
	.amdhsa_kernel fft_rtc_fwd_len40_factors_5_4_2_wgs_200_tpt_10_halfLds_dim1_sp_op_CI_CI_unitstride_sbrr_R2C_dirReg
		.amdhsa_group_segment_fixed_size 0
		.amdhsa_private_segment_fixed_size 0
		.amdhsa_kernarg_size 96
		.amdhsa_user_sgpr_count 6
		.amdhsa_user_sgpr_private_segment_buffer 1
		.amdhsa_user_sgpr_dispatch_ptr 0
		.amdhsa_user_sgpr_queue_ptr 0
		.amdhsa_user_sgpr_kernarg_segment_ptr 1
		.amdhsa_user_sgpr_dispatch_id 0
		.amdhsa_user_sgpr_flat_scratch_init 0
		.amdhsa_user_sgpr_private_segment_size 0
		.amdhsa_wavefront_size32 1
		.amdhsa_uses_dynamic_stack 0
		.amdhsa_system_sgpr_private_segment_wavefront_offset 0
		.amdhsa_system_sgpr_workgroup_id_x 1
		.amdhsa_system_sgpr_workgroup_id_y 0
		.amdhsa_system_sgpr_workgroup_id_z 0
		.amdhsa_system_sgpr_workgroup_info 0
		.amdhsa_system_vgpr_workitem_id 0
		.amdhsa_next_free_vgpr 35
		.amdhsa_next_free_sgpr 10
		.amdhsa_reserve_vcc 1
		.amdhsa_reserve_flat_scratch 0
		.amdhsa_float_round_mode_32 0
		.amdhsa_float_round_mode_16_64 0
		.amdhsa_float_denorm_mode_32 3
		.amdhsa_float_denorm_mode_16_64 3
		.amdhsa_dx10_clamp 1
		.amdhsa_ieee_mode 1
		.amdhsa_fp16_overflow 0
		.amdhsa_workgroup_processor_mode 1
		.amdhsa_memory_ordered 1
		.amdhsa_forward_progress 0
		.amdhsa_shared_vgpr_count 0
		.amdhsa_exception_fp_ieee_invalid_op 0
		.amdhsa_exception_fp_denorm_src 0
		.amdhsa_exception_fp_ieee_div_zero 0
		.amdhsa_exception_fp_ieee_overflow 0
		.amdhsa_exception_fp_ieee_underflow 0
		.amdhsa_exception_fp_ieee_inexact 0
		.amdhsa_exception_int_div_zero 0
	.end_amdhsa_kernel
	.text
.Lfunc_end0:
	.size	fft_rtc_fwd_len40_factors_5_4_2_wgs_200_tpt_10_halfLds_dim1_sp_op_CI_CI_unitstride_sbrr_R2C_dirReg, .Lfunc_end0-fft_rtc_fwd_len40_factors_5_4_2_wgs_200_tpt_10_halfLds_dim1_sp_op_CI_CI_unitstride_sbrr_R2C_dirReg
                                        ; -- End function
	.section	.AMDGPU.csdata,"",@progbits
; Kernel info:
; codeLenInByte = 2112
; NumSgprs: 12
; NumVgprs: 35
; ScratchSize: 0
; MemoryBound: 0
; FloatMode: 240
; IeeeMode: 1
; LDSByteSize: 0 bytes/workgroup (compile time only)
; SGPRBlocks: 1
; VGPRBlocks: 4
; NumSGPRsForWavesPerEU: 12
; NumVGPRsForWavesPerEU: 35
; Occupancy: 16
; WaveLimiterHint : 1
; COMPUTE_PGM_RSRC2:SCRATCH_EN: 0
; COMPUTE_PGM_RSRC2:USER_SGPR: 6
; COMPUTE_PGM_RSRC2:TRAP_HANDLER: 0
; COMPUTE_PGM_RSRC2:TGID_X_EN: 1
; COMPUTE_PGM_RSRC2:TGID_Y_EN: 0
; COMPUTE_PGM_RSRC2:TGID_Z_EN: 0
; COMPUTE_PGM_RSRC2:TIDIG_COMP_CNT: 0
	.text
	.p2alignl 6, 3214868480
	.fill 48, 4, 3214868480
	.type	__hip_cuid_363920b40c1d9896,@object ; @__hip_cuid_363920b40c1d9896
	.section	.bss,"aw",@nobits
	.globl	__hip_cuid_363920b40c1d9896
__hip_cuid_363920b40c1d9896:
	.byte	0                               ; 0x0
	.size	__hip_cuid_363920b40c1d9896, 1

	.ident	"AMD clang version 19.0.0git (https://github.com/RadeonOpenCompute/llvm-project roc-6.4.0 25133 c7fe45cf4b819c5991fe208aaa96edf142730f1d)"
	.section	".note.GNU-stack","",@progbits
	.addrsig
	.addrsig_sym __hip_cuid_363920b40c1d9896
	.amdgpu_metadata
---
amdhsa.kernels:
  - .args:
      - .actual_access:  read_only
        .address_space:  global
        .offset:         0
        .size:           8
        .value_kind:     global_buffer
      - .actual_access:  read_only
        .address_space:  global
        .offset:         8
        .size:           8
        .value_kind:     global_buffer
      - .actual_access:  read_only
        .address_space:  global
        .offset:         16
        .size:           8
        .value_kind:     global_buffer
      - .actual_access:  read_only
        .address_space:  global
        .offset:         24
        .size:           8
        .value_kind:     global_buffer
      - .offset:         32
        .size:           8
        .value_kind:     by_value
      - .actual_access:  read_only
        .address_space:  global
        .offset:         40
        .size:           8
        .value_kind:     global_buffer
      - .actual_access:  read_only
        .address_space:  global
        .offset:         48
        .size:           8
        .value_kind:     global_buffer
      - .offset:         56
        .size:           4
        .value_kind:     by_value
      - .actual_access:  read_only
        .address_space:  global
        .offset:         64
        .size:           8
        .value_kind:     global_buffer
      - .actual_access:  read_only
        .address_space:  global
        .offset:         72
        .size:           8
        .value_kind:     global_buffer
      - .actual_access:  read_only
        .address_space:  global
        .offset:         80
        .size:           8
        .value_kind:     global_buffer
      - .actual_access:  write_only
        .address_space:  global
        .offset:         88
        .size:           8
        .value_kind:     global_buffer
    .group_segment_fixed_size: 0
    .kernarg_segment_align: 8
    .kernarg_segment_size: 96
    .language:       OpenCL C
    .language_version:
      - 2
      - 0
    .max_flat_workgroup_size: 200
    .name:           fft_rtc_fwd_len40_factors_5_4_2_wgs_200_tpt_10_halfLds_dim1_sp_op_CI_CI_unitstride_sbrr_R2C_dirReg
    .private_segment_fixed_size: 0
    .sgpr_count:     12
    .sgpr_spill_count: 0
    .symbol:         fft_rtc_fwd_len40_factors_5_4_2_wgs_200_tpt_10_halfLds_dim1_sp_op_CI_CI_unitstride_sbrr_R2C_dirReg.kd
    .uniform_work_group_size: 1
    .uses_dynamic_stack: false
    .vgpr_count:     35
    .vgpr_spill_count: 0
    .wavefront_size: 32
    .workgroup_processor_mode: 1
amdhsa.target:   amdgcn-amd-amdhsa--gfx1030
amdhsa.version:
  - 1
  - 2
...

	.end_amdgpu_metadata
